;; amdgpu-corpus repo=ROCm/rocFFT kind=compiled arch=gfx906 opt=O3
	.text
	.amdgcn_target "amdgcn-amd-amdhsa--gfx906"
	.amdhsa_code_object_version 6
	.protected	fft_rtc_fwd_len1617_factors_3_7_7_11_wgs_231_tpt_231_dp_op_CI_CI_sbrr_dirReg ; -- Begin function fft_rtc_fwd_len1617_factors_3_7_7_11_wgs_231_tpt_231_dp_op_CI_CI_sbrr_dirReg
	.globl	fft_rtc_fwd_len1617_factors_3_7_7_11_wgs_231_tpt_231_dp_op_CI_CI_sbrr_dirReg
	.p2align	8
	.type	fft_rtc_fwd_len1617_factors_3_7_7_11_wgs_231_tpt_231_dp_op_CI_CI_sbrr_dirReg,@function
fft_rtc_fwd_len1617_factors_3_7_7_11_wgs_231_tpt_231_dp_op_CI_CI_sbrr_dirReg: ; @fft_rtc_fwd_len1617_factors_3_7_7_11_wgs_231_tpt_231_dp_op_CI_CI_sbrr_dirReg
; %bb.0:
	s_load_dwordx4 s[16:19], s[4:5], 0x18
	s_load_dwordx4 s[12:15], s[4:5], 0x0
	;; [unrolled: 1-line block ×3, first 2 shown]
	v_mul_u32_u24_e32 v1, 0x11c, v0
	v_add_u32_sdwa v6, s6, v1 dst_sel:DWORD dst_unused:UNUSED_PAD src0_sel:DWORD src1_sel:WORD_1
	s_waitcnt lgkmcnt(0)
	s_load_dwordx2 s[2:3], s[16:17], 0x0
	s_load_dwordx2 s[20:21], s[18:19], 0x0
	v_cmp_lt_u64_e64 s[0:1], s[14:15], 2
	v_mov_b32_e32 v1, 0
	v_mov_b32_e32 v4, 0
	;; [unrolled: 1-line block ×3, first 2 shown]
	s_and_b64 vcc, exec, s[0:1]
	v_mov_b32_e32 v5, 0
	s_cbranch_vccnz .LBB0_8
; %bb.1:
	s_load_dwordx2 s[0:1], s[4:5], 0x10
	s_add_u32 s6, s18, 8
	s_addc_u32 s7, s19, 0
	s_add_u32 s22, s16, 8
	v_mov_b32_e32 v4, 0
	s_addc_u32 s23, s17, 0
	v_mov_b32_e32 v5, 0
	s_waitcnt lgkmcnt(0)
	s_add_u32 s24, s0, 8
	v_mov_b32_e32 v45, v5
	s_addc_u32 s25, s1, 0
	s_mov_b64 s[26:27], 1
	v_mov_b32_e32 v44, v4
.LBB0_2:                                ; =>This Inner Loop Header: Depth=1
	s_load_dwordx2 s[28:29], s[24:25], 0x0
                                        ; implicit-def: $vgpr46_vgpr47
	s_waitcnt lgkmcnt(0)
	v_or_b32_e32 v2, s29, v7
	v_cmp_ne_u64_e32 vcc, 0, v[1:2]
	s_and_saveexec_b64 s[0:1], vcc
	s_xor_b64 s[30:31], exec, s[0:1]
	s_cbranch_execz .LBB0_4
; %bb.3:                                ;   in Loop: Header=BB0_2 Depth=1
	v_cvt_f32_u32_e32 v2, s28
	v_cvt_f32_u32_e32 v3, s29
	s_sub_u32 s0, 0, s28
	s_subb_u32 s1, 0, s29
	v_mac_f32_e32 v2, 0x4f800000, v3
	v_rcp_f32_e32 v2, v2
	v_mul_f32_e32 v2, 0x5f7ffffc, v2
	v_mul_f32_e32 v3, 0x2f800000, v2
	v_trunc_f32_e32 v3, v3
	v_mac_f32_e32 v2, 0xcf800000, v3
	v_cvt_u32_f32_e32 v3, v3
	v_cvt_u32_f32_e32 v2, v2
	v_mul_lo_u32 v8, s0, v3
	v_mul_hi_u32 v9, s0, v2
	v_mul_lo_u32 v11, s1, v2
	v_mul_lo_u32 v10, s0, v2
	v_add_u32_e32 v8, v9, v8
	v_add_u32_e32 v8, v8, v11
	v_mul_hi_u32 v9, v2, v10
	v_mul_lo_u32 v11, v2, v8
	v_mul_hi_u32 v13, v2, v8
	v_mul_hi_u32 v12, v3, v10
	v_mul_lo_u32 v10, v3, v10
	v_mul_hi_u32 v14, v3, v8
	v_add_co_u32_e32 v9, vcc, v9, v11
	v_addc_co_u32_e32 v11, vcc, 0, v13, vcc
	v_mul_lo_u32 v8, v3, v8
	v_add_co_u32_e32 v9, vcc, v9, v10
	v_addc_co_u32_e32 v9, vcc, v11, v12, vcc
	v_addc_co_u32_e32 v10, vcc, 0, v14, vcc
	v_add_co_u32_e32 v8, vcc, v9, v8
	v_addc_co_u32_e32 v9, vcc, 0, v10, vcc
	v_add_co_u32_e32 v2, vcc, v2, v8
	v_addc_co_u32_e32 v3, vcc, v3, v9, vcc
	v_mul_lo_u32 v8, s0, v3
	v_mul_hi_u32 v9, s0, v2
	v_mul_lo_u32 v10, s1, v2
	v_mul_lo_u32 v11, s0, v2
	v_add_u32_e32 v8, v9, v8
	v_add_u32_e32 v8, v8, v10
	v_mul_lo_u32 v12, v2, v8
	v_mul_hi_u32 v13, v2, v11
	v_mul_hi_u32 v14, v2, v8
	;; [unrolled: 1-line block ×3, first 2 shown]
	v_mul_lo_u32 v11, v3, v11
	v_mul_hi_u32 v9, v3, v8
	v_add_co_u32_e32 v12, vcc, v13, v12
	v_addc_co_u32_e32 v13, vcc, 0, v14, vcc
	v_mul_lo_u32 v8, v3, v8
	v_add_co_u32_e32 v11, vcc, v12, v11
	v_addc_co_u32_e32 v10, vcc, v13, v10, vcc
	v_addc_co_u32_e32 v9, vcc, 0, v9, vcc
	v_add_co_u32_e32 v8, vcc, v10, v8
	v_addc_co_u32_e32 v9, vcc, 0, v9, vcc
	v_add_co_u32_e32 v8, vcc, v2, v8
	v_addc_co_u32_e32 v9, vcc, v3, v9, vcc
	v_mad_u64_u32 v[2:3], s[0:1], v6, v9, 0
	v_mul_hi_u32 v10, v6, v8
	v_add_co_u32_e32 v10, vcc, v10, v2
	v_addc_co_u32_e32 v11, vcc, 0, v3, vcc
	v_mad_u64_u32 v[2:3], s[0:1], v7, v8, 0
	v_mad_u64_u32 v[8:9], s[0:1], v7, v9, 0
	v_add_co_u32_e32 v2, vcc, v10, v2
	v_addc_co_u32_e32 v2, vcc, v11, v3, vcc
	v_addc_co_u32_e32 v3, vcc, 0, v9, vcc
	v_add_co_u32_e32 v8, vcc, v2, v8
	v_addc_co_u32_e32 v9, vcc, 0, v3, vcc
	v_mul_lo_u32 v10, s29, v8
	v_mul_lo_u32 v11, s28, v9
	v_mad_u64_u32 v[2:3], s[0:1], s28, v8, 0
	v_add3_u32 v3, v3, v11, v10
	v_sub_u32_e32 v10, v7, v3
	v_mov_b32_e32 v11, s29
	v_sub_co_u32_e32 v2, vcc, v6, v2
	v_subb_co_u32_e64 v10, s[0:1], v10, v11, vcc
	v_subrev_co_u32_e64 v11, s[0:1], s28, v2
	v_subbrev_co_u32_e64 v10, s[0:1], 0, v10, s[0:1]
	v_cmp_le_u32_e64 s[0:1], s29, v10
	v_cndmask_b32_e64 v12, 0, -1, s[0:1]
	v_cmp_le_u32_e64 s[0:1], s28, v11
	v_cndmask_b32_e64 v11, 0, -1, s[0:1]
	v_cmp_eq_u32_e64 s[0:1], s29, v10
	v_cndmask_b32_e64 v10, v12, v11, s[0:1]
	v_add_co_u32_e64 v11, s[0:1], 2, v8
	v_addc_co_u32_e64 v12, s[0:1], 0, v9, s[0:1]
	v_add_co_u32_e64 v13, s[0:1], 1, v8
	v_addc_co_u32_e64 v14, s[0:1], 0, v9, s[0:1]
	v_subb_co_u32_e32 v3, vcc, v7, v3, vcc
	v_cmp_ne_u32_e64 s[0:1], 0, v10
	v_cmp_le_u32_e32 vcc, s29, v3
	v_cndmask_b32_e64 v10, v14, v12, s[0:1]
	v_cndmask_b32_e64 v12, 0, -1, vcc
	v_cmp_le_u32_e32 vcc, s28, v2
	v_cndmask_b32_e64 v2, 0, -1, vcc
	v_cmp_eq_u32_e32 vcc, s29, v3
	v_cndmask_b32_e32 v2, v12, v2, vcc
	v_cmp_ne_u32_e32 vcc, 0, v2
	v_cndmask_b32_e64 v2, v13, v11, s[0:1]
	v_cndmask_b32_e32 v47, v9, v10, vcc
	v_cndmask_b32_e32 v46, v8, v2, vcc
.LBB0_4:                                ;   in Loop: Header=BB0_2 Depth=1
	s_andn2_saveexec_b64 s[0:1], s[30:31]
	s_cbranch_execz .LBB0_6
; %bb.5:                                ;   in Loop: Header=BB0_2 Depth=1
	v_cvt_f32_u32_e32 v2, s28
	s_sub_i32 s30, 0, s28
	v_mov_b32_e32 v47, v1
	v_rcp_iflag_f32_e32 v2, v2
	v_mul_f32_e32 v2, 0x4f7ffffe, v2
	v_cvt_u32_f32_e32 v2, v2
	v_mul_lo_u32 v3, s30, v2
	v_mul_hi_u32 v3, v2, v3
	v_add_u32_e32 v2, v2, v3
	v_mul_hi_u32 v2, v6, v2
	v_mul_lo_u32 v3, v2, s28
	v_add_u32_e32 v8, 1, v2
	v_sub_u32_e32 v3, v6, v3
	v_subrev_u32_e32 v9, s28, v3
	v_cmp_le_u32_e32 vcc, s28, v3
	v_cndmask_b32_e32 v3, v3, v9, vcc
	v_cndmask_b32_e32 v2, v2, v8, vcc
	v_add_u32_e32 v8, 1, v2
	v_cmp_le_u32_e32 vcc, s28, v3
	v_cndmask_b32_e32 v46, v2, v8, vcc
.LBB0_6:                                ;   in Loop: Header=BB0_2 Depth=1
	s_or_b64 exec, exec, s[0:1]
	v_mul_lo_u32 v8, v47, s28
	v_mul_lo_u32 v9, v46, s29
	v_mad_u64_u32 v[2:3], s[0:1], v46, s28, 0
	s_load_dwordx2 s[0:1], s[22:23], 0x0
	s_load_dwordx2 s[28:29], s[6:7], 0x0
	v_add3_u32 v3, v3, v9, v8
	v_sub_co_u32_e32 v2, vcc, v6, v2
	v_subb_co_u32_e32 v3, vcc, v7, v3, vcc
	s_waitcnt lgkmcnt(0)
	v_mul_lo_u32 v6, s0, v3
	v_mul_lo_u32 v7, s1, v2
	v_mad_u64_u32 v[4:5], s[0:1], s0, v2, v[4:5]
	v_mul_lo_u32 v3, s28, v3
	v_mul_lo_u32 v8, s29, v2
	v_mad_u64_u32 v[44:45], s[0:1], s28, v2, v[44:45]
	s_add_u32 s26, s26, 1
	s_addc_u32 s27, s27, 0
	s_add_u32 s6, s6, 8
	v_add3_u32 v45, v8, v45, v3
	s_addc_u32 s7, s7, 0
	v_mov_b32_e32 v2, s14
	s_add_u32 s22, s22, 8
	v_mov_b32_e32 v3, s15
	s_addc_u32 s23, s23, 0
	v_cmp_ge_u64_e32 vcc, s[26:27], v[2:3]
	s_add_u32 s24, s24, 8
	v_add3_u32 v5, v7, v5, v6
	s_addc_u32 s25, s25, 0
	s_cbranch_vccnz .LBB0_9
; %bb.7:                                ;   in Loop: Header=BB0_2 Depth=1
	v_mov_b32_e32 v6, v46
	v_mov_b32_e32 v7, v47
	s_branch .LBB0_2
.LBB0_8:
	v_mov_b32_e32 v45, v5
	v_mov_b32_e32 v47, v7
	;; [unrolled: 1-line block ×4, first 2 shown]
.LBB0_9:
	s_load_dwordx2 s[0:1], s[4:5], 0x28
	s_lshl_b64 s[14:15], s[14:15], 3
	s_add_u32 s4, s18, s14
	s_addc_u32 s5, s19, s15
                                        ; implicit-def: $vgpr108
                                        ; implicit-def: $vgpr38
	s_waitcnt lgkmcnt(0)
	v_cmp_gt_u64_e32 vcc, s[0:1], v[46:47]
	v_cmp_le_u64_e64 s[0:1], s[0:1], v[46:47]
	s_and_saveexec_b64 s[6:7], s[0:1]
	s_xor_b64 s[0:1], exec, s[6:7]
; %bb.10:
	s_mov_b32 s6, 0x11bb4a5
	v_mul_hi_u32 v1, v0, s6
                                        ; implicit-def: $vgpr4_vgpr5
	v_mul_u32_u24_e32 v1, 0xe7, v1
	v_sub_u32_e32 v108, v0, v1
	v_add_u32_e32 v38, 0xe7, v108
                                        ; implicit-def: $vgpr0
; %bb.11:
	s_or_saveexec_b64 s[6:7], s[0:1]
	s_load_dwordx2 s[4:5], s[4:5], 0x0
                                        ; implicit-def: $vgpr18_vgpr19
                                        ; implicit-def: $vgpr14_vgpr15
                                        ; implicit-def: $vgpr10_vgpr11
                                        ; implicit-def: $vgpr6_vgpr7
                                        ; implicit-def: $vgpr2_vgpr3
                                        ; implicit-def: $vgpr30_vgpr31
                                        ; implicit-def: $vgpr34_vgpr35
                                        ; implicit-def: $vgpr22_vgpr23
                                        ; implicit-def: $vgpr26_vgpr27
	s_xor_b64 exec, exec, s[6:7]
	s_cbranch_execz .LBB0_15
; %bb.12:
	s_add_u32 s0, s16, s14
	s_mov_b32 s14, 0x11bb4a5
	s_addc_u32 s1, s17, s15
	v_mul_hi_u32 v1, v0, s14
	s_load_dwordx2 s[0:1], s[0:1], 0x0
	v_mul_u32_u24_e32 v1, 0xe7, v1
	v_sub_u32_e32 v108, v0, v1
	s_waitcnt lgkmcnt(0)
	v_mul_lo_u32 v8, s1, v46
	v_mad_u64_u32 v[0:1], s[14:15], s2, v108, 0
	v_mul_lo_u32 v9, s0, v47
	v_mad_u64_u32 v[2:3], s[0:1], s0, v46, 0
	v_add_u32_e32 v38, 0xe7, v108
	v_mad_u64_u32 v[6:7], s[0:1], s3, v108, v[1:2]
	v_add3_u32 v3, v3, v9, v8
	v_lshlrev_b64 v[2:3], 4, v[2:3]
	v_mov_b32_e32 v1, v6
	v_mov_b32_e32 v6, s9
	v_add_co_u32_e64 v7, s[0:1], s8, v2
	v_add_u32_e32 v8, 0x21b, v108
	v_addc_co_u32_e64 v6, s[0:1], v6, v3, s[0:1]
	v_lshlrev_b64 v[2:3], 4, v[4:5]
	v_mad_u64_u32 v[4:5], s[0:1], s2, v8, 0
	v_add_co_u32_e64 v18, s[0:1], v7, v2
	v_mov_b32_e32 v2, v5
	v_addc_co_u32_e64 v19, s[0:1], v6, v3, s[0:1]
	v_mad_u64_u32 v[2:3], s[0:1], s3, v8, v[2:3]
	v_add_u32_e32 v8, 0x436, v108
	v_mad_u64_u32 v[6:7], s[0:1], s2, v8, 0
	v_lshlrev_b64 v[0:1], 4, v[0:1]
	v_mov_b32_e32 v5, v2
	v_add_co_u32_e64 v0, s[0:1], v18, v0
	v_lshlrev_b64 v[2:3], 4, v[4:5]
	v_mov_b32_e32 v4, v7
	v_addc_co_u32_e64 v1, s[0:1], v19, v1, s[0:1]
	v_mad_u64_u32 v[4:5], s[0:1], s3, v8, v[4:5]
	v_mad_u64_u32 v[8:9], s[0:1], s2, v38, 0
	v_mov_b32_e32 v7, v4
	v_add_co_u32_e64 v2, s[0:1], v18, v2
	v_lshlrev_b64 v[4:5], 4, v[6:7]
	v_mov_b32_e32 v6, v9
	v_addc_co_u32_e64 v3, s[0:1], v19, v3, s[0:1]
	v_mad_u64_u32 v[6:7], s[0:1], s3, v38, v[6:7]
	v_add_u32_e32 v7, 0x302, v108
	v_mad_u64_u32 v[10:11], s[0:1], s2, v7, 0
	v_add_co_u32_e64 v12, s[0:1], v18, v4
	v_mov_b32_e32 v9, v6
	v_mov_b32_e32 v6, v11
	v_addc_co_u32_e64 v13, s[0:1], v19, v5, s[0:1]
	v_lshlrev_b64 v[4:5], 4, v[8:9]
	v_mad_u64_u32 v[6:7], s[0:1], s3, v7, v[6:7]
	v_add_u32_e32 v9, 0x51d, v108
	v_mad_u64_u32 v[7:8], s[0:1], s2, v9, 0
	v_add_co_u32_e64 v14, s[0:1], v18, v4
	v_mov_b32_e32 v11, v6
	v_mov_b32_e32 v6, v8
	v_addc_co_u32_e64 v15, s[0:1], v19, v5, s[0:1]
	v_mad_u64_u32 v[8:9], s[0:1], s3, v9, v[6:7]
	v_lshlrev_b64 v[4:5], 4, v[10:11]
	global_load_dwordx4 v[24:27], v[0:1], off
	global_load_dwordx4 v[20:23], v[2:3], off
	v_add_co_u32_e64 v9, s[0:1], v18, v4
	v_lshlrev_b64 v[0:1], 4, v[7:8]
	v_addc_co_u32_e64 v10, s[0:1], v19, v5, s[0:1]
	v_add_co_u32_e64 v16, s[0:1], v18, v0
	v_addc_co_u32_e64 v17, s[0:1], v19, v1, s[0:1]
	global_load_dwordx4 v[32:35], v[12:13], off
	global_load_dwordx4 v[28:31], v[14:15], off
	;; [unrolled: 1-line block ×4, first 2 shown]
	s_movk_i32 s0, 0x4d
	v_cmp_gt_u32_e64 s[0:1], s0, v108
                                        ; implicit-def: $vgpr8_vgpr9
                                        ; implicit-def: $vgpr12_vgpr13
                                        ; implicit-def: $vgpr16_vgpr17
	s_and_saveexec_b64 s[8:9], s[0:1]
	s_cbranch_execz .LBB0_14
; %bb.13:
	v_add_u32_e32 v12, 0x1ce, v108
	v_add_u32_e32 v14, 0x3e9, v108
	v_mad_u64_u32 v[8:9], s[0:1], s2, v12, 0
	v_mad_u64_u32 v[10:11], s[0:1], s2, v14, 0
	;; [unrolled: 1-line block ×3, first 2 shown]
	v_mov_b32_e32 v9, v12
	v_mad_u64_u32 v[11:12], s[0:1], s3, v14, v[11:12]
	v_add_u32_e32 v12, 0x604, v108
	v_mad_u64_u32 v[16:17], s[0:1], s2, v12, 0
	v_lshlrev_b64 v[8:9], 4, v[8:9]
	v_add_co_u32_e64 v36, s[0:1], v18, v8
	v_addc_co_u32_e64 v37, s[0:1], v19, v9, s[0:1]
	v_lshlrev_b64 v[8:9], 4, v[10:11]
	v_mov_b32_e32 v10, v17
	v_mad_u64_u32 v[39:40], s[0:1], s3, v12, v[10:11]
	v_add_co_u32_e64 v40, s[0:1], v18, v8
	v_mov_b32_e32 v17, v39
	v_lshlrev_b64 v[16:17], 4, v[16:17]
	v_addc_co_u32_e64 v41, s[0:1], v19, v9, s[0:1]
	v_add_co_u32_e64 v16, s[0:1], v18, v16
	v_addc_co_u32_e64 v17, s[0:1], v19, v17, s[0:1]
	global_load_dwordx4 v[8:11], v[36:37], off
	global_load_dwordx4 v[12:15], v[40:41], off
	s_nop 0
	global_load_dwordx4 v[16:19], v[16:17], off
.LBB0_14:
	s_or_b64 exec, exec, s[8:9]
.LBB0_15:
	s_or_b64 exec, exec, s[6:7]
	s_waitcnt vmcnt(3)
	v_add_f64 v[36:37], v[32:33], v[20:21]
	v_add_f64 v[39:40], v[34:35], v[22:23]
	;; [unrolled: 1-line block ×4, first 2 shown]
	s_waitcnt vmcnt(0)
	v_add_f64 v[50:51], v[4:5], v[0:1]
	v_add_f64 v[52:53], v[6:7], v[2:3]
	v_add_f64 v[22:23], v[22:23], -v[34:35]
	s_mov_b32 s0, 0xe8584caa
	v_fma_f64 v[36:37], v[36:37], -0.5, v[24:25]
	v_fma_f64 v[39:40], v[39:40], -0.5, v[26:27]
	v_add_f64 v[24:25], v[32:33], v[41:42]
	v_add_f64 v[26:27], v[34:35], v[48:49]
	v_add_f64 v[41:42], v[0:1], v[28:29]
	v_add_f64 v[48:49], v[2:3], v[30:31]
	v_fma_f64 v[50:51], v[50:51], -0.5, v[28:29]
	v_fma_f64 v[52:53], v[52:53], -0.5, v[30:31]
	v_add_f64 v[2:3], v[2:3], -v[6:7]
	v_add_f64 v[0:1], v[0:1], -v[4:5]
	s_mov_b32 s1, 0x3febb67a
	s_mov_b32 s3, 0xbfebb67a
	v_add_f64 v[28:29], v[4:5], v[41:42]
	v_add_f64 v[30:31], v[6:7], v[48:49]
	;; [unrolled: 1-line block ×4, first 2 shown]
	s_mov_b32 s2, s0
	v_add_f64 v[34:35], v[20:21], -v[32:33]
	v_fma_f64 v[20:21], v[22:23], s[0:1], v[36:37]
	v_fma_f64 v[32:33], v[22:23], s[2:3], v[36:37]
	v_add_f64 v[36:37], v[14:15], -v[18:19]
	v_add_f64 v[56:57], v[12:13], -v[16:17]
	v_fma_f64 v[6:7], v[6:7], -0.5, v[8:9]
	v_fma_f64 v[54:55], v[4:5], -0.5, v[10:11]
	v_fma_f64 v[48:49], v[2:3], s[2:3], v[50:51]
	v_fma_f64 v[22:23], v[34:35], s[2:3], v[39:40]
	;; [unrolled: 1-line block ×10, first 2 shown]
	v_mad_u32_u24 v36, v108, 48, 0
	s_movk_i32 s0, 0x4d
	ds_write_b128 v36, v[24:27]
	ds_write_b128 v36, v[20:23] offset:16
	ds_write_b128 v36, v[32:35] offset:32
	v_mad_i32_i24 v20, v38, 48, 0
	v_cmp_gt_u32_e64 s[0:1], s0, v108
	ds_write_b128 v20, v[28:31]
	ds_write_b128 v20, v[39:42] offset:16
	ds_write_b128 v20, v[48:51] offset:32
	s_and_saveexec_b64 s[2:3], s[0:1]
	s_cbranch_execz .LBB0_17
; %bb.16:
	v_add_f64 v[10:11], v[14:15], v[10:11]
	v_add_f64 v[8:9], v[12:13], v[8:9]
	;; [unrolled: 1-line block ×4, first 2 shown]
	ds_write_b128 v36, v[4:7] offset:22192
	ds_write_b128 v36, v[8:11] offset:22176
	;; [unrolled: 1-line block ×3, first 2 shown]
.LBB0_17:
	s_or_b64 exec, exec, s[2:3]
	s_movk_i32 s0, 0xab
	v_mul_lo_u16_sdwa v8, v108, s0 dst_sel:DWORD dst_unused:UNUSED_PAD src0_sel:BYTE_0 src1_sel:DWORD
	v_lshrrev_b16_e32 v80, 9, v8
	v_mul_lo_u16_e32 v8, 3, v80
	v_sub_u16_e32 v81, v108, v8
	v_mov_b32_e32 v82, 6
	v_mul_u32_u24_sdwa v8, v81, v82 dst_sel:DWORD dst_unused:UNUSED_PAD src0_sel:BYTE_0 src1_sel:DWORD
	v_lshlrev_b32_e32 v33, 4, v8
	s_waitcnt lgkmcnt(0)
	s_barrier
	global_load_dwordx4 v[8:11], v33, s[12:13]
	global_load_dwordx4 v[12:15], v33, s[12:13] offset:16
	global_load_dwordx4 v[16:19], v33, s[12:13] offset:80
	;; [unrolled: 1-line block ×5, first 2 shown]
	v_lshlrev_b32_e32 v33, 5, v38
	v_lshlrev_b32_e32 v37, 5, v108
	v_sub_u32_e32 v83, v20, v33
	v_sub_u32_e32 v84, v36, v37
	ds_read_b128 v[38:41], v83
	ds_read_b128 v[48:51], v84
	ds_read_b128 v[52:55], v84 offset:7392
	ds_read_b128 v[56:59], v84 offset:18480
	;; [unrolled: 1-line block ×5, first 2 shown]
	s_mov_b32 s2, 0x37e14327
	s_mov_b32 s0, 0x36b3c0b5
	;; [unrolled: 1-line block ×20, first 2 shown]
	s_movk_i32 s28, 0x87
	s_waitcnt vmcnt(0) lgkmcnt(0)
	s_barrier
	v_mul_f64 v[33:34], v[40:41], v[10:11]
	v_mul_f64 v[10:11], v[38:39], v[10:11]
	;; [unrolled: 1-line block ×12, first 2 shown]
	v_fma_f64 v[33:34], v[38:39], v[8:9], -v[33:34]
	v_fma_f64 v[8:9], v[40:41], v[8:9], v[10:11]
	v_fma_f64 v[10:11], v[52:53], v[12:13], -v[42:43]
	v_fma_f64 v[12:13], v[54:55], v[12:13], v[14:15]
	;; [unrolled: 2-line block ×6, first 2 shown]
	v_add_f64 v[30:31], v[33:34], v[14:15]
	v_add_f64 v[38:39], v[8:9], v[16:17]
	v_add_f64 v[14:15], v[33:34], -v[14:15]
	v_add_f64 v[8:9], v[8:9], -v[16:17]
	v_add_f64 v[16:17], v[10:11], v[22:23]
	v_add_f64 v[32:33], v[12:13], v[24:25]
	v_add_f64 v[10:11], v[10:11], -v[22:23]
	v_add_f64 v[12:13], v[12:13], -v[24:25]
	;; [unrolled: 4-line block ×4, first 2 shown]
	v_add_f64 v[30:31], v[30:31], -v[22:23]
	v_add_f64 v[38:39], v[38:39], -v[24:25]
	;; [unrolled: 1-line block ×4, first 2 shown]
	v_add_f64 v[42:43], v[18:19], v[10:11]
	v_add_f64 v[52:53], v[20:21], v[12:13]
	v_add_f64 v[54:55], v[18:19], -v[10:11]
	v_add_f64 v[56:57], v[20:21], -v[12:13]
	v_add_f64 v[22:23], v[22:23], v[26:27]
	v_add_f64 v[24:25], v[24:25], v[28:29]
	v_add_f64 v[58:59], v[10:11], -v[14:15]
	v_add_f64 v[12:13], v[12:13], -v[8:9]
	;; [unrolled: 1-line block ×4, first 2 shown]
	v_add_f64 v[14:15], v[42:43], v[14:15]
	v_add_f64 v[26:27], v[52:53], v[8:9]
	v_mul_f64 v[28:29], v[30:31], s[2:3]
	v_mul_f64 v[30:31], v[38:39], s[2:3]
	;; [unrolled: 1-line block ×6, first 2 shown]
	v_add_f64 v[8:9], v[48:49], v[22:23]
	v_add_f64 v[10:11], v[50:51], v[24:25]
	v_mul_f64 v[56:57], v[58:59], s[6:7]
	v_mul_f64 v[60:61], v[12:13], s[6:7]
	v_fma_f64 v[16:17], v[16:17], s[0:1], v[28:29]
	v_fma_f64 v[32:33], v[32:33], s[0:1], v[30:31]
	v_fma_f64 v[38:39], v[34:35], s[16:17], -v[38:39]
	v_fma_f64 v[42:43], v[40:41], s[16:17], -v[42:43]
	;; [unrolled: 1-line block ×4, first 2 shown]
	v_fma_f64 v[34:35], v[18:19], s[22:23], v[52:53]
	v_fma_f64 v[40:41], v[20:21], s[22:23], v[54:55]
	;; [unrolled: 1-line block ×4, first 2 shown]
	v_fma_f64 v[18:19], v[18:19], s[24:25], -v[56:57]
	v_fma_f64 v[20:21], v[20:21], s[24:25], -v[60:61]
	;; [unrolled: 1-line block ×4, first 2 shown]
	v_fma_f64 v[34:35], v[14:15], s[26:27], v[34:35]
	v_fma_f64 v[40:41], v[26:27], s[26:27], v[40:41]
	v_add_f64 v[56:57], v[16:17], v[22:23]
	v_add_f64 v[58:59], v[32:33], v[24:25]
	v_fma_f64 v[52:53], v[14:15], s[26:27], v[18:19]
	v_fma_f64 v[54:55], v[26:27], s[26:27], v[20:21]
	v_add_f64 v[28:29], v[28:29], v[22:23]
	v_add_f64 v[30:31], v[30:31], v[24:25]
	;; [unrolled: 4-line block ×3, first 2 shown]
	v_add_f64 v[12:13], v[40:41], v[56:57]
	v_add_f64 v[14:15], v[58:59], -v[34:35]
	v_add_f64 v[16:17], v[54:55], v[28:29]
	v_add_f64 v[18:19], v[30:31], -v[52:53]
	v_add_f64 v[28:29], v[28:29], -v[54:55]
	v_add_f64 v[30:31], v[52:53], v[30:31]
	v_add_f64 v[20:21], v[26:27], -v[50:51]
	v_add_f64 v[22:23], v[48:49], v[32:33]
	v_add_f64 v[24:25], v[50:51], v[26:27]
	v_add_f64 v[26:27], v[32:33], -v[48:49]
	v_mov_b32_e32 v39, 4
	v_add_f64 v[32:33], v[56:57], -v[40:41]
	v_add_f64 v[34:35], v[34:35], v[58:59]
	v_mul_u32_u24_e32 v38, 0x150, v80
	v_lshlrev_b32_sdwa v40, v39, v81 dst_sel:DWORD dst_unused:UNUSED_PAD src0_sel:DWORD src1_sel:BYTE_0
	v_add3_u32 v38, 0, v38, v40
	ds_write_b128 v38, v[8:11]
	ds_write_b128 v38, v[12:15] offset:48
	ds_write_b128 v38, v[16:19] offset:96
	ds_write_b128 v38, v[20:23] offset:144
	ds_write_b128 v38, v[24:27] offset:192
	ds_write_b128 v38, v[28:31] offset:240
	ds_write_b128 v38, v[32:35] offset:288
	v_mul_lo_u16_sdwa v8, v108, s28 dst_sel:DWORD dst_unused:UNUSED_PAD src0_sel:BYTE_0 src1_sel:DWORD
	v_sub_u16_sdwa v9, v108, v8 dst_sel:DWORD dst_unused:UNUSED_PAD src0_sel:DWORD src1_sel:BYTE_1
	v_lshrrev_b16_e32 v9, 1, v9
	v_and_b32_e32 v9, 0x7f, v9
	v_add_u16_sdwa v8, v9, v8 dst_sel:DWORD dst_unused:UNUSED_PAD src0_sel:DWORD src1_sel:BYTE_1
	v_lshrrev_b16_e32 v8, 4, v8
	v_and_b32_e32 v32, 15, v8
	v_mul_lo_u16_e32 v8, 21, v32
	v_sub_u16_e32 v33, v108, v8
	v_mul_u32_u24_sdwa v8, v33, v82 dst_sel:DWORD dst_unused:UNUSED_PAD src0_sel:BYTE_0 src1_sel:DWORD
	v_lshlrev_b32_e32 v34, 4, v8
	s_waitcnt lgkmcnt(0)
	s_barrier
	global_load_dwordx4 v[8:11], v34, s[12:13] offset:288
	global_load_dwordx4 v[12:15], v34, s[12:13] offset:304
	;; [unrolled: 1-line block ×6, first 2 shown]
	s_movk_i32 s28, 0x930
	v_mul_u32_u24_sdwa v32, v32, s28 dst_sel:DWORD dst_unused:UNUSED_PAD src0_sel:WORD_0 src1_sel:DWORD
	v_lshlrev_b32_sdwa v33, v39, v33 dst_sel:DWORD dst_unused:UNUSED_PAD src0_sel:DWORD src1_sel:BYTE_0
	v_add3_u32 v78, 0, v32, v33
	ds_read_b128 v[32:35], v83
	ds_read_b128 v[38:41], v84
	ds_read_b128 v[48:51], v84 offset:7392
	ds_read_b128 v[52:55], v84 offset:18480
	;; [unrolled: 1-line block ×5, first 2 shown]
	s_waitcnt vmcnt(0) lgkmcnt(0)
	s_barrier
	v_mul_f64 v[42:43], v[34:35], v[10:11]
	v_mul_f64 v[10:11], v[32:33], v[10:11]
	;; [unrolled: 1-line block ×12, first 2 shown]
	v_fma_f64 v[32:33], v[32:33], v[8:9], -v[42:43]
	v_fma_f64 v[8:9], v[34:35], v[8:9], v[10:11]
	v_fma_f64 v[10:11], v[48:49], v[12:13], -v[68:69]
	v_fma_f64 v[12:13], v[50:51], v[12:13], v[14:15]
	;; [unrolled: 2-line block ×6, first 2 shown]
	v_add_f64 v[30:31], v[32:33], v[14:15]
	v_add_f64 v[34:35], v[8:9], v[16:17]
	v_add_f64 v[14:15], v[32:33], -v[14:15]
	v_add_f64 v[8:9], v[8:9], -v[16:17]
	v_add_f64 v[16:17], v[10:11], v[22:23]
	v_add_f64 v[32:33], v[12:13], v[24:25]
	v_add_f64 v[10:11], v[10:11], -v[22:23]
	v_add_f64 v[12:13], v[12:13], -v[24:25]
	;; [unrolled: 4-line block ×4, first 2 shown]
	v_add_f64 v[30:31], v[30:31], -v[22:23]
	v_add_f64 v[34:35], v[34:35], -v[24:25]
	;; [unrolled: 1-line block ×4, first 2 shown]
	v_add_f64 v[50:51], v[18:19], v[10:11]
	v_add_f64 v[52:53], v[20:21], v[12:13]
	v_add_f64 v[54:55], v[18:19], -v[10:11]
	v_add_f64 v[56:57], v[20:21], -v[12:13]
	;; [unrolled: 1-line block ×4, first 2 shown]
	v_add_f64 v[22:23], v[22:23], v[26:27]
	v_add_f64 v[24:25], v[24:25], v[28:29]
	v_add_f64 v[18:19], v[14:15], -v[18:19]
	v_add_f64 v[20:21], v[8:9], -v[20:21]
	v_add_f64 v[14:15], v[50:51], v[14:15]
	v_add_f64 v[26:27], v[52:53], v[8:9]
	v_mul_f64 v[28:29], v[30:31], s[2:3]
	v_mul_f64 v[30:31], v[34:35], s[2:3]
	;; [unrolled: 1-line block ×8, first 2 shown]
	v_add_f64 v[8:9], v[38:39], v[22:23]
	v_add_f64 v[10:11], v[40:41], v[24:25]
	v_fma_f64 v[16:17], v[16:17], s[0:1], v[28:29]
	v_fma_f64 v[32:33], v[32:33], s[0:1], v[30:31]
	v_fma_f64 v[34:35], v[42:43], s[16:17], -v[34:35]
	v_fma_f64 v[38:39], v[48:49], s[16:17], -v[50:51]
	;; [unrolled: 1-line block ×4, first 2 shown]
	v_fma_f64 v[40:41], v[18:19], s[22:23], v[52:53]
	v_fma_f64 v[42:43], v[20:21], s[22:23], v[54:55]
	v_fma_f64 v[48:49], v[58:59], s[6:7], -v[52:53]
	v_fma_f64 v[12:13], v[12:13], s[6:7], -v[54:55]
	;; [unrolled: 1-line block ×4, first 2 shown]
	v_fma_f64 v[22:23], v[22:23], s[8:9], v[8:9]
	v_fma_f64 v[24:25], v[24:25], s[8:9], v[10:11]
	;; [unrolled: 1-line block ×8, first 2 shown]
	v_add_f64 v[56:57], v[16:17], v[22:23]
	v_add_f64 v[58:59], v[32:33], v[24:25]
	;; [unrolled: 1-line block ×6, first 2 shown]
	s_movk_i32 s6, 0x93
	v_cmp_gt_u32_e64 s[0:1], s6, v108
	v_add_f64 v[12:13], v[42:43], v[56:57]
	v_add_f64 v[14:15], v[58:59], -v[40:41]
	v_add_f64 v[16:17], v[54:55], v[28:29]
	v_add_f64 v[18:19], v[30:31], -v[52:53]
	v_add_f64 v[20:21], v[26:27], -v[50:51]
	v_add_f64 v[22:23], v[48:49], v[32:33]
	v_add_f64 v[24:25], v[50:51], v[26:27]
	v_add_f64 v[26:27], v[32:33], -v[48:49]
	v_add_f64 v[28:29], v[28:29], -v[54:55]
	v_add_f64 v[30:31], v[52:53], v[30:31]
	v_add_f64 v[32:33], v[56:57], -v[42:43]
	v_add_f64 v[34:35], v[40:41], v[58:59]
	ds_write_b128 v78, v[8:11]
	ds_write_b128 v78, v[12:15] offset:336
	ds_write_b128 v78, v[16:19] offset:672
	;; [unrolled: 1-line block ×6, first 2 shown]
	s_waitcnt lgkmcnt(0)
	s_barrier
	s_waitcnt lgkmcnt(0)
                                        ; implicit-def: $vgpr42_vgpr43
                                        ; implicit-def: $vgpr38_vgpr39
	s_and_saveexec_b64 s[2:3], s[0:1]
	s_cbranch_execz .LBB0_19
; %bb.18:
	v_sub_u32_e32 v0, 0, v37
	v_add_u32_e32 v40, v36, v0
	ds_read_b128 v[8:11], v40
	ds_read_b128 v[12:15], v40 offset:2352
	ds_read_b128 v[16:19], v40 offset:4704
	;; [unrolled: 1-line block ×10, first 2 shown]
.LBB0_19:
	s_or_b64 exec, exec, s[2:3]
	v_cmp_gt_u32_e64 s[2:3], s6, v108
	s_and_b64 s[2:3], vcc, s[2:3]
	s_and_saveexec_b64 s[6:7], s[2:3]
	s_cbranch_execz .LBB0_21
; %bb.20:
	v_add_u32_e32 v48, 0xffffff6d, v108
	v_cndmask_b32_e64 v48, v48, v108, s[0:1]
	v_mul_i32_i24_e32 v48, 10, v48
	v_mov_b32_e32 v49, 0
	v_lshlrev_b64 v[48:49], 4, v[48:49]
	v_mov_b32_e32 v50, s13
	v_add_co_u32_e32 v52, vcc, s12, v48
	v_addc_co_u32_e32 v53, vcc, v50, v49, vcc
	global_load_dwordx4 v[48:51], v[52:53], off offset:2368
	global_load_dwordx4 v[54:57], v[52:53], off offset:2384
	global_load_dwordx4 v[58:61], v[52:53], off offset:2352
	global_load_dwordx4 v[66:69], v[52:53], off offset:2400
	global_load_dwordx4 v[72:75], v[52:53], off offset:2304
	global_load_dwordx4 v[76:79], v[52:53], off offset:2448
	global_load_dwordx4 v[80:83], v[52:53], off offset:2320
	global_load_dwordx4 v[84:87], v[52:53], off offset:2432
	global_load_dwordx4 v[96:99], v[52:53], off offset:2336
	global_load_dwordx4 v[100:103], v[52:53], off offset:2416
	s_mov_b32 s0, 0x9bcd5057
	s_mov_b32 s2, 0xfd768dbf
	;; [unrolled: 1-line block ×30, first 2 shown]
	s_waitcnt vmcnt(9) lgkmcnt(5)
	v_mul_f64 v[52:53], v[30:31], v[48:49]
	v_mul_f64 v[30:31], v[30:31], v[50:51]
	s_waitcnt vmcnt(7)
	v_mul_f64 v[64:65], v[26:27], v[58:59]
	v_mul_f64 v[26:27], v[26:27], v[60:61]
	s_waitcnt vmcnt(5)
	v_mul_f64 v[90:91], v[14:15], v[72:73]
	s_waitcnt vmcnt(4) lgkmcnt(0)
	v_mul_f64 v[104:105], v[42:43], v[76:77]
	v_mul_f64 v[14:15], v[14:15], v[74:75]
	;; [unrolled: 1-line block ×3, first 2 shown]
	s_waitcnt vmcnt(3)
	v_mul_f64 v[109:110], v[18:19], v[80:81]
	s_waitcnt vmcnt(2)
	v_mul_f64 v[111:112], v[38:39], v[84:85]
	v_fma_f64 v[70:71], v[24:25], v[60:61], v[64:65]
	v_fma_f64 v[64:65], v[24:25], v[58:59], -v[26:27]
	v_fma_f64 v[94:95], v[12:13], v[74:75], v[90:91]
	v_fma_f64 v[24:25], v[40:41], v[78:79], v[104:105]
	v_mul_f64 v[18:19], v[18:19], v[82:83]
	v_mul_f64 v[113:114], v[38:39], v[86:87]
	s_waitcnt vmcnt(1)
	v_mul_f64 v[115:116], v[22:23], v[96:97]
	s_waitcnt vmcnt(0)
	v_mul_f64 v[117:118], v[2:3], v[100:101]
	v_mul_f64 v[22:23], v[22:23], v[98:99]
	;; [unrolled: 1-line block ×3, first 2 shown]
	v_fma_f64 v[48:49], v[28:29], v[48:49], -v[30:31]
	v_fma_f64 v[92:93], v[12:13], v[72:73], -v[14:15]
	;; [unrolled: 1-line block ×3, first 2 shown]
	v_fma_f64 v[90:91], v[16:17], v[82:83], v[109:110]
	v_fma_f64 v[30:31], v[36:37], v[86:87], v[111:112]
	v_add_f64 v[106:107], v[94:95], v[24:25]
	v_add_f64 v[104:105], v[94:95], -v[24:25]
	v_mul_f64 v[62:63], v[34:35], v[54:55]
	v_mul_f64 v[34:35], v[34:35], v[56:57]
	;; [unrolled: 1-line block ×4, first 2 shown]
	v_fma_f64 v[52:53], v[28:29], v[50:51], v[52:53]
	v_fma_f64 v[86:87], v[16:17], v[80:81], -v[18:19]
	v_fma_f64 v[28:29], v[36:37], v[84:85], -v[113:114]
	v_fma_f64 v[82:83], v[20:21], v[98:99], v[115:116]
	v_fma_f64 v[78:79], v[20:21], v[96:97], -v[22:23]
	v_fma_f64 v[40:41], v[0:1], v[102:103], v[117:118]
	v_fma_f64 v[36:37], v[0:1], v[100:101], -v[2:3]
	v_add_f64 v[102:103], v[90:91], v[30:31]
	v_add_f64 v[100:101], v[92:93], -v[26:27]
	v_add_f64 v[84:85], v[90:91], -v[30:31]
	v_add_f64 v[96:97], v[92:93], v[26:27]
	v_mul_f64 v[0:1], v[106:107], s[0:1]
	v_mul_f64 v[2:3], v[104:105], s[6:7]
	v_fma_f64 v[42:43], v[32:33], v[56:57], v[62:63]
	v_fma_f64 v[38:39], v[32:33], v[54:55], -v[34:35]
	v_fma_f64 v[34:35], v[4:5], v[68:69], v[88:89]
	v_fma_f64 v[32:33], v[4:5], v[66:67], -v[6:7]
	v_add_f64 v[76:77], v[86:87], -v[28:29]
	v_add_f64 v[60:61], v[86:87], v[28:29]
	v_add_f64 v[98:99], v[82:83], v[40:41]
	v_add_f64 v[80:81], v[82:83], -v[40:41]
	v_mul_f64 v[4:5], v[102:103], s[8:9]
	v_mul_f64 v[6:7], v[84:85], s[36:37]
	v_fma_f64 v[20:21], v[100:101], s[2:3], v[0:1]
	v_fma_f64 v[111:112], v[96:97], s[0:1], v[2:3]
	v_add_f64 v[74:75], v[78:79], -v[36:37]
	v_add_f64 v[58:59], v[78:79], v[36:37]
	v_add_f64 v[88:89], v[70:71], v[34:35]
	v_add_f64 v[66:67], v[70:71], -v[34:35]
	v_mul_f64 v[12:13], v[98:99], s[14:15]
	v_mul_f64 v[14:15], v[80:81], s[16:17]
	v_fma_f64 v[119:120], v[76:77], s[12:13], v[4:5]
	v_add_f64 v[20:21], v[10:11], v[20:21]
	v_fma_f64 v[0:1], v[100:101], s[6:7], v[0:1]
	v_fma_f64 v[121:122], v[60:61], s[8:9], v[6:7]
	v_add_f64 v[111:112], v[8:9], v[111:112]
	v_fma_f64 v[2:3], v[96:97], s[0:1], -v[2:3]
	v_add_f64 v[62:63], v[64:65], -v[32:33]
	v_add_f64 v[56:57], v[64:65], v[32:33]
	v_add_f64 v[72:73], v[52:53], v[42:43]
	v_add_f64 v[68:69], v[52:53], -v[42:43]
	v_mul_f64 v[16:17], v[88:89], s[18:19]
	v_mul_f64 v[18:19], v[66:67], s[34:35]
	v_fma_f64 v[4:5], v[76:77], s[36:37], v[4:5]
	v_fma_f64 v[123:124], v[74:75], s[24:25], v[12:13]
	;; [unrolled: 1-line block ×3, first 2 shown]
	v_add_f64 v[20:21], v[119:120], v[20:21]
	v_fma_f64 v[6:7], v[60:61], s[8:9], -v[6:7]
	v_add_f64 v[111:112], v[121:122], v[111:112]
	v_add_f64 v[0:1], v[10:11], v[0:1]
	;; [unrolled: 1-line block ×3, first 2 shown]
	v_add_f64 v[50:51], v[48:49], -v[38:39]
	v_add_f64 v[54:55], v[48:49], v[38:39]
	v_mul_f64 v[22:23], v[72:73], s[22:23]
	v_mul_f64 v[109:110], v[68:69], s[28:29]
	;; [unrolled: 1-line block ×3, first 2 shown]
	v_fma_f64 v[12:13], v[74:75], s[16:17], v[12:13]
	v_fma_f64 v[119:120], v[62:63], s[26:27], v[16:17]
	v_fma_f64 v[121:122], v[56:57], s[18:19], v[18:19]
	v_add_f64 v[20:21], v[123:124], v[20:21]
	v_fma_f64 v[14:15], v[58:59], s[14:15], -v[14:15]
	v_add_f64 v[111:112], v[125:126], v[111:112]
	v_add_f64 v[0:1], v[4:5], v[0:1]
	;; [unrolled: 1-line block ×3, first 2 shown]
	v_mul_f64 v[115:116], v[102:103], s[22:23]
	v_mul_f64 v[117:118], v[104:105], s[16:17]
	v_fma_f64 v[123:124], v[50:51], s[30:31], v[22:23]
	v_fma_f64 v[125:126], v[100:101], s[24:25], v[113:114]
	;; [unrolled: 1-line block ×3, first 2 shown]
	v_add_f64 v[6:7], v[119:120], v[20:21]
	v_fma_f64 v[16:17], v[62:63], s[34:35], v[16:17]
	v_fma_f64 v[18:19], v[56:57], s[18:19], -v[18:19]
	v_add_f64 v[20:21], v[121:122], v[111:112]
	v_add_f64 v[12:13], v[12:13], v[0:1]
	v_add_f64 v[14:15], v[14:15], v[2:3]
	v_fma_f64 v[111:112], v[76:77], s[28:29], v[115:116]
	v_add_f64 v[119:120], v[10:11], v[125:126]
	v_add_f64 v[2:3], v[123:124], v[6:7]
	v_fma_f64 v[6:7], v[96:97], s[14:15], v[117:118]
	v_mul_f64 v[121:122], v[84:85], s[30:31]
	v_add_f64 v[0:1], v[4:5], v[20:21]
	v_mul_f64 v[20:21], v[98:99], s[8:9]
	v_add_f64 v[4:5], v[16:17], v[12:13]
	v_add_f64 v[12:13], v[18:19], v[14:15]
	v_fma_f64 v[14:15], v[50:51], s[28:29], v[22:23]
	v_fma_f64 v[16:17], v[54:55], s[22:23], -v[109:110]
	v_add_f64 v[18:19], v[8:9], v[6:7]
	v_fma_f64 v[22:23], v[60:61], s[22:23], v[121:122]
	v_mul_f64 v[109:110], v[80:81], s[12:13]
	v_add_f64 v[111:112], v[111:112], v[119:120]
	v_fma_f64 v[119:120], v[74:75], s[36:37], v[20:21]
	v_fma_f64 v[113:114], v[100:101], s[16:17], v[113:114]
	v_add_f64 v[6:7], v[14:15], v[4:5]
	v_fma_f64 v[4:5], v[96:97], s[14:15], -v[117:118]
	v_mul_f64 v[123:124], v[88:89], s[0:1]
	v_add_f64 v[14:15], v[22:23], v[18:19]
	v_fma_f64 v[18:19], v[58:59], s[8:9], v[109:110]
	v_mul_f64 v[22:23], v[66:67], s[6:7]
	v_fma_f64 v[115:116], v[76:77], s[30:31], v[115:116]
	v_add_f64 v[113:114], v[10:11], v[113:114]
	v_add_f64 v[111:112], v[119:120], v[111:112]
	v_fma_f64 v[117:118], v[60:61], s[22:23], -v[121:122]
	v_add_f64 v[119:120], v[8:9], v[4:5]
	v_fma_f64 v[121:122], v[62:63], s[2:3], v[123:124]
	v_add_f64 v[14:15], v[18:19], v[14:15]
	v_fma_f64 v[18:19], v[56:57], s[0:1], v[22:23]
	v_add_f64 v[4:5], v[16:17], v[12:13]
	v_add_f64 v[12:13], v[115:116], v[113:114]
	v_fma_f64 v[16:17], v[74:75], s[12:13], v[20:21]
	v_mul_f64 v[20:21], v[72:73], s[18:19]
	v_add_f64 v[113:114], v[117:118], v[119:120]
	v_fma_f64 v[109:110], v[58:59], s[8:9], -v[109:110]
	v_mul_f64 v[115:116], v[106:107], s[22:23]
	v_add_f64 v[111:112], v[121:122], v[111:112]
	v_add_f64 v[18:19], v[18:19], v[14:15]
	v_mul_f64 v[117:118], v[68:69], s[34:35]
	v_add_f64 v[12:13], v[16:17], v[12:13]
	v_fma_f64 v[14:15], v[50:51], s[26:27], v[20:21]
	v_mul_f64 v[16:17], v[104:105], s[28:29]
	v_add_f64 v[109:110], v[109:110], v[113:114]
	v_fma_f64 v[113:114], v[62:63], s[6:7], v[123:124]
	v_fma_f64 v[22:23], v[56:57], s[0:1], -v[22:23]
	v_fma_f64 v[119:120], v[100:101], s[30:31], v[115:116]
	v_mul_f64 v[121:122], v[102:103], s[0:1]
	v_fma_f64 v[123:124], v[54:55], s[18:19], v[117:118]
	v_add_f64 v[14:15], v[14:15], v[111:112]
	v_fma_f64 v[111:112], v[96:97], s[22:23], v[16:17]
	v_mul_f64 v[125:126], v[84:85], s[2:3]
	v_add_f64 v[113:114], v[113:114], v[12:13]
	v_add_f64 v[109:110], v[22:23], v[109:110]
	;; [unrolled: 1-line block ×3, first 2 shown]
	v_fma_f64 v[119:120], v[76:77], s[6:7], v[121:122]
	v_mul_f64 v[127:128], v[98:99], s[18:19]
	v_fma_f64 v[20:21], v[50:51], s[34:35], v[20:21]
	v_fma_f64 v[117:118], v[54:55], s[18:19], -v[117:118]
	v_add_f64 v[111:112], v[8:9], v[111:112]
	v_fma_f64 v[129:130], v[60:61], s[0:1], v[125:126]
	v_mul_f64 v[131:132], v[80:81], s[34:35]
	v_add_f64 v[12:13], v[123:124], v[18:19]
	v_add_f64 v[18:19], v[119:120], v[22:23]
	v_fma_f64 v[119:120], v[74:75], s[26:27], v[127:128]
	v_add_f64 v[22:23], v[20:21], v[113:114]
	v_mul_f64 v[113:114], v[88:89], s[8:9]
	v_add_f64 v[20:21], v[117:118], v[109:110]
	v_fma_f64 v[109:110], v[100:101], s[28:29], v[115:116]
	v_add_f64 v[111:112], v[129:130], v[111:112]
	v_fma_f64 v[123:124], v[58:59], s[18:19], v[131:132]
	v_mul_f64 v[115:116], v[66:67], s[12:13]
	v_add_f64 v[18:19], v[119:120], v[18:19]
	v_fma_f64 v[16:17], v[96:97], s[22:23], -v[16:17]
	v_fma_f64 v[117:118], v[62:63], s[36:37], v[113:114]
	v_mul_f64 v[119:120], v[72:73], s[14:15]
	v_fma_f64 v[121:122], v[76:77], s[2:3], v[121:122]
	v_add_f64 v[109:110], v[10:11], v[109:110]
	v_add_f64 v[111:112], v[123:124], v[111:112]
	v_fma_f64 v[123:124], v[56:57], s[8:9], v[115:116]
	v_fma_f64 v[125:126], v[60:61], s[0:1], -v[125:126]
	v_add_f64 v[16:17], v[8:9], v[16:17]
	v_add_f64 v[18:19], v[117:118], v[18:19]
	v_fma_f64 v[117:118], v[50:51], s[24:25], v[119:120]
	v_mul_f64 v[129:130], v[106:107], s[18:19]
	v_mul_f64 v[133:134], v[68:69], s[16:17]
	v_add_f64 v[109:110], v[121:122], v[109:110]
	v_fma_f64 v[121:122], v[74:75], s[34:35], v[127:128]
	v_add_f64 v[111:112], v[123:124], v[111:112]
	v_add_f64 v[16:17], v[125:126], v[16:17]
	v_fma_f64 v[123:124], v[58:59], s[18:19], -v[131:132]
	v_add_f64 v[18:19], v[117:118], v[18:19]
	v_fma_f64 v[117:118], v[100:101], s[34:35], v[129:130]
	v_mul_f64 v[125:126], v[102:103], s[14:15]
	v_fma_f64 v[127:128], v[54:55], s[14:15], v[133:134]
	v_add_f64 v[109:110], v[121:122], v[109:110]
	v_mul_f64 v[121:122], v[104:105], s[26:27]
	v_fma_f64 v[113:114], v[62:63], s[12:13], v[113:114]
	v_add_f64 v[123:124], v[123:124], v[16:17]
	v_fma_f64 v[115:116], v[56:57], s[8:9], -v[115:116]
	v_add_f64 v[117:118], v[10:11], v[117:118]
	v_fma_f64 v[131:132], v[76:77], s[24:25], v[125:126]
	v_mul_f64 v[135:136], v[98:99], s[0:1]
	v_add_f64 v[16:17], v[127:128], v[111:112]
	v_fma_f64 v[111:112], v[96:97], s[18:19], v[121:122]
	v_add_f64 v[109:110], v[113:114], v[109:110]
	v_mul_f64 v[113:114], v[84:85], s[16:17]
	v_add_f64 v[115:116], v[115:116], v[123:124]
	v_fma_f64 v[119:120], v[50:51], s[16:17], v[119:120]
	v_add_f64 v[117:118], v[131:132], v[117:118]
	v_fma_f64 v[123:124], v[74:75], s[6:7], v[135:136]
	v_fma_f64 v[129:130], v[100:101], s[26:27], v[129:130]
	v_fma_f64 v[127:128], v[54:55], s[14:15], -v[133:134]
	v_add_f64 v[131:132], v[8:9], v[111:112]
	v_fma_f64 v[133:134], v[60:61], s[14:15], v[113:114]
	v_mul_f64 v[137:138], v[80:81], s[2:3]
	v_add_f64 v[111:112], v[119:120], v[109:110]
	v_mul_f64 v[109:110], v[88:89], s[22:23]
	v_add_f64 v[117:118], v[123:124], v[117:118]
	v_fma_f64 v[119:120], v[96:97], s[18:19], -v[121:122]
	v_fma_f64 v[121:122], v[76:77], s[16:17], v[125:126]
	v_add_f64 v[123:124], v[10:11], v[129:130]
	v_add_f64 v[125:126], v[133:134], v[131:132]
	v_fma_f64 v[129:130], v[58:59], s[0:1], v[137:138]
	v_mul_f64 v[131:132], v[66:67], s[30:31]
	v_fma_f64 v[133:134], v[62:63], s[28:29], v[109:110]
	v_mul_f64 v[139:140], v[72:73], s[8:9]
	v_fma_f64 v[113:114], v[60:61], s[14:15], -v[113:114]
	v_add_f64 v[119:120], v[8:9], v[119:120]
	v_add_f64 v[121:122], v[121:122], v[123:124]
	v_fma_f64 v[123:124], v[74:75], s[2:3], v[135:136]
	v_add_f64 v[125:126], v[129:130], v[125:126]
	v_fma_f64 v[129:130], v[56:57], s[22:23], v[131:132]
	v_mul_f64 v[135:136], v[68:69], s[36:37]
	v_add_f64 v[117:118], v[133:134], v[117:118]
	v_fma_f64 v[133:134], v[50:51], s[12:13], v[139:140]
	v_add_f64 v[113:114], v[113:114], v[119:120]
	v_fma_f64 v[119:120], v[58:59], s[0:1], -v[137:138]
	v_add_f64 v[121:122], v[123:124], v[121:122]
	v_fma_f64 v[123:124], v[62:63], s[30:31], v[109:110]
	v_add_f64 v[125:126], v[129:130], v[125:126]
	v_fma_f64 v[129:130], v[54:55], s[8:9], v[135:136]
	v_add_f64 v[109:110], v[127:128], v[115:116]
	v_add_f64 v[115:116], v[133:134], v[117:118]
	v_mul_f64 v[106:107], v[106:107], s[8:9]
	v_add_f64 v[119:120], v[119:120], v[113:114]
	v_mul_f64 v[102:103], v[102:103], s[18:19]
	v_add_f64 v[117:118], v[123:124], v[121:122]
	v_fma_f64 v[121:122], v[50:51], s[36:37], v[139:140]
	v_add_f64 v[113:114], v[129:130], v[125:126]
	v_add_f64 v[125:126], v[10:11], v[94:95]
	v_mul_f64 v[104:105], v[104:105], s[12:13]
	v_fma_f64 v[123:124], v[100:101], s[36:37], v[106:107]
	v_mul_f64 v[98:99], v[98:99], s[22:23]
	v_fma_f64 v[100:101], v[100:101], s[12:13], v[106:107]
	v_mul_f64 v[84:85], v[84:85], s[26:27]
	v_add_f64 v[94:95], v[121:122], v[117:118]
	v_add_f64 v[117:118], v[8:9], v[92:93]
	;; [unrolled: 1-line block ×3, first 2 shown]
	v_fma_f64 v[129:130], v[96:97], s[8:9], v[104:105]
	v_add_f64 v[121:122], v[10:11], v[123:124]
	v_fma_f64 v[123:124], v[76:77], s[34:35], v[102:103]
	v_fma_f64 v[96:97], v[96:97], s[8:9], -v[104:105]
	v_add_f64 v[10:11], v[10:11], v[100:101]
	v_fma_f64 v[76:77], v[76:77], s[26:27], v[102:103]
	v_add_f64 v[86:87], v[86:87], v[117:118]
	v_add_f64 v[82:83], v[82:83], v[90:91]
	v_fma_f64 v[90:91], v[74:75], s[30:31], v[98:99]
	v_add_f64 v[106:107], v[8:9], v[129:130]
	v_add_f64 v[104:105], v[123:124], v[121:122]
	v_mul_f64 v[80:81], v[80:81], s[28:29]
	v_add_f64 v[8:9], v[8:9], v[96:97]
	v_add_f64 v[10:11], v[76:77], v[10:11]
	;; [unrolled: 1-line block ×4, first 2 shown]
	v_mul_f64 v[86:87], v[88:89], s[14:15]
	v_mul_f64 v[66:67], v[66:67], s[16:17]
	v_add_f64 v[88:89], v[90:91], v[104:105]
	v_fma_f64 v[90:91], v[60:61], s[18:19], v[84:85]
	v_fma_f64 v[60:61], v[60:61], s[18:19], -v[84:85]
	v_mul_f64 v[72:73], v[72:73], s[0:1]
	v_add_f64 v[64:65], v[64:65], v[78:79]
	v_add_f64 v[52:53], v[52:53], v[70:71]
	v_fma_f64 v[70:71], v[58:59], s[22:23], v[80:81]
	v_fma_f64 v[58:59], v[58:59], s[22:23], -v[80:81]
	v_fma_f64 v[127:128], v[56:57], s[22:23], -v[131:132]
	v_add_f64 v[78:79], v[90:91], v[106:107]
	v_add_f64 v[8:9], v[60:61], v[8:9]
	v_fma_f64 v[60:61], v[56:57], s[14:15], v[66:67]
	v_add_f64 v[48:49], v[48:49], v[64:65]
	v_add_f64 v[42:43], v[42:43], v[52:53]
	v_fma_f64 v[64:65], v[74:75], s[28:29], v[98:99]
	v_fma_f64 v[56:57], v[56:57], s[14:15], -v[66:67]
	v_mul_lo_u32 v100, s5, v46
	v_add_f64 v[52:53], v[70:71], v[78:79]
	v_add_f64 v[8:9], v[58:59], v[8:9]
	v_mul_lo_u32 v101, s4, v47
	v_add_f64 v[38:39], v[38:39], v[48:49]
	v_add_f64 v[34:35], v[34:35], v[42:43]
	v_fma_f64 v[48:49], v[62:63], s[16:17], v[86:87]
	v_mul_f64 v[42:43], v[68:69], s[6:7]
	v_mad_u64_u32 v[46:47], s[4:5], s4, v46, 0
	v_fma_f64 v[82:83], v[62:63], s[24:25], v[86:87]
	v_fma_f64 v[62:63], v[50:51], s[2:3], v[72:73]
	v_add_f64 v[32:33], v[32:33], v[38:39]
	v_add_f64 v[34:35], v[40:41], v[34:35]
	;; [unrolled: 1-line block ×3, first 2 shown]
	v_fma_f64 v[40:41], v[54:55], s[0:1], v[42:43]
	v_fma_f64 v[42:43], v[54:55], s[0:1], -v[42:43]
	v_add_f64 v[52:53], v[60:61], v[52:53]
	v_add3_u32 v47, v47, v101, v100
	v_add_f64 v[119:120], v[127:128], v[119:120]
	v_add_f64 v[32:33], v[36:37], v[32:33]
	;; [unrolled: 1-line block ×3, first 2 shown]
	v_fma_f64 v[36:37], v[50:51], s[6:7], v[72:73]
	v_add_f64 v[38:39], v[48:49], v[38:39]
	v_add_f64 v[48:49], v[56:57], v[8:9]
	v_mad_u64_u32 v[50:51], s[0:1], s20, v108, 0
	v_add_f64 v[8:9], v[40:41], v[52:53]
	v_add_f64 v[32:33], v[28:29], v[32:33]
	v_mov_b32_e32 v28, v51
	v_add_f64 v[34:35], v[24:25], v[34:35]
	v_lshlrev_b64 v[24:25], 4, v[46:47]
	v_add_f64 v[30:31], v[36:37], v[38:39]
	v_mad_u64_u32 v[36:37], s[0:1], s21, v108, v[28:29]
	v_add_f64 v[28:29], v[42:43], v[48:49]
	v_add_f64 v[32:33], v[26:27], v[32:33]
	v_mov_b32_e32 v26, s11
	v_add_co_u32_e32 v27, vcc, s10, v24
	v_addc_co_u32_e32 v26, vcc, v26, v25, vcc
	v_lshlrev_b64 v[24:25], 4, v[44:45]
	v_mov_b32_e32 v51, v36
	v_add_co_u32_e32 v39, vcc, v27, v24
	v_add_u32_e32 v36, 0x93, v108
	v_addc_co_u32_e32 v40, vcc, v26, v25, vcc
	v_mad_u64_u32 v[26:27], s[0:1], s20, v36, 0
	v_add_u32_e32 v41, 0x126, v108
	v_lshlrev_b64 v[24:25], 4, v[50:51]
	v_mad_u64_u32 v[36:37], s[0:1], s21, v36, v[27:28]
	v_mad_u64_u32 v[37:38], s[0:1], s20, v41, 0
	v_fma_f64 v[127:128], v[54:55], s[8:9], -v[135:136]
	v_add_co_u32_e32 v24, vcc, v39, v24
	v_addc_co_u32_e32 v25, vcc, v40, v25, vcc
	v_mov_b32_e32 v27, v36
	global_store_dwordx4 v[24:25], v[32:35], off
	v_lshlrev_b64 v[24:25], 4, v[26:27]
	v_mov_b32_e32 v26, v38
	v_mad_u64_u32 v[26:27], s[0:1], s21, v41, v[26:27]
	v_add_co_u32_e32 v24, vcc, v39, v24
	v_addc_co_u32_e32 v25, vcc, v40, v25, vcc
	global_store_dwordx4 v[24:25], v[28:31], off
	v_mov_b32_e32 v38, v26
	v_add_u32_e32 v28, 0x1b9, v108
	v_mad_u64_u32 v[26:27], s[0:1], s20, v28, 0
	v_add_f64 v[92:93], v[127:128], v[119:120]
	v_add_u32_e32 v30, 0x24c, v108
	v_mad_u64_u32 v[27:28], s[0:1], s21, v28, v[27:28]
	v_lshlrev_b64 v[24:25], 4, v[37:38]
	v_mad_u64_u32 v[28:29], s[0:1], s20, v30, 0
	v_add_co_u32_e32 v24, vcc, v39, v24
	v_addc_co_u32_e32 v25, vcc, v40, v25, vcc
	global_store_dwordx4 v[24:25], v[92:95], off
	v_lshlrev_b64 v[24:25], 4, v[26:27]
	v_mov_b32_e32 v26, v29
	v_mad_u64_u32 v[26:27], s[0:1], s21, v30, v[26:27]
	v_add_co_u32_e32 v24, vcc, v39, v24
	v_addc_co_u32_e32 v25, vcc, v40, v25, vcc
	v_mov_b32_e32 v29, v26
	global_store_dwordx4 v[24:25], v[109:112], off
	v_lshlrev_b64 v[24:25], 4, v[28:29]
	v_add_u32_e32 v28, 0x2df, v108
	v_mad_u64_u32 v[26:27], s[0:1], s20, v28, 0
	v_add_co_u32_e32 v24, vcc, v39, v24
	v_mad_u64_u32 v[27:28], s[0:1], s21, v28, v[27:28]
	v_addc_co_u32_e32 v25, vcc, v40, v25, vcc
	v_add_u32_e32 v30, 0x372, v108
	v_mad_u64_u32 v[28:29], s[0:1], s20, v30, 0
	global_store_dwordx4 v[24:25], v[20:23], off
	v_add_f64 v[82:83], v[82:83], v[88:89]
	v_lshlrev_b64 v[20:21], 4, v[26:27]
	v_mov_b32_e32 v22, v29
	v_add_co_u32_e32 v20, vcc, v39, v20
	v_addc_co_u32_e32 v21, vcc, v40, v21, vcc
	global_store_dwordx4 v[20:21], v[4:7], off
	v_add_u32_e32 v20, 0x405, v108
	v_mad_u64_u32 v[22:23], s[0:1], s21, v30, v[22:23]
	v_mad_u64_u32 v[6:7], s[0:1], s20, v20, 0
	v_mov_b32_e32 v29, v22
	v_add_u32_e32 v23, 0x498, v108
	v_mad_u64_u32 v[20:21], s[0:1], s21, v20, v[7:8]
	v_lshlrev_b64 v[4:5], 4, v[28:29]
	v_mad_u64_u32 v[21:22], s[0:1], s20, v23, 0
	v_add_co_u32_e32 v4, vcc, v39, v4
	v_addc_co_u32_e32 v5, vcc, v40, v5, vcc
	global_store_dwordx4 v[4:5], v[0:3], off
	v_add_u32_e32 v4, 0x52b, v108
	v_mov_b32_e32 v2, v22
	v_mad_u64_u32 v[2:3], s[0:1], s21, v23, v[2:3]
	v_mov_b32_e32 v7, v20
	v_lshlrev_b64 v[0:1], 4, v[6:7]
	v_mov_b32_e32 v22, v2
	v_mad_u64_u32 v[2:3], s[0:1], s20, v4, 0
	v_add_co_u32_e32 v0, vcc, v39, v0
	v_addc_co_u32_e32 v1, vcc, v40, v1, vcc
	v_mad_u64_u32 v[3:4], s[0:1], s21, v4, v[3:4]
	v_add_u32_e32 v6, 0x5be, v108
	global_store_dwordx4 v[0:1], v[12:15], off
	v_lshlrev_b64 v[0:1], 4, v[21:22]
	v_mad_u64_u32 v[4:5], s[0:1], s20, v6, 0
	v_add_co_u32_e32 v0, vcc, v39, v0
	v_addc_co_u32_e32 v1, vcc, v40, v1, vcc
	global_store_dwordx4 v[0:1], v[16:19], off
	v_lshlrev_b64 v[0:1], 4, v[2:3]
	v_mov_b32_e32 v2, v5
	v_mad_u64_u32 v[2:3], s[0:1], s21, v6, v[2:3]
	v_add_f64 v[10:11], v[62:63], v[82:83]
	v_add_co_u32_e32 v0, vcc, v39, v0
	v_addc_co_u32_e32 v1, vcc, v40, v1, vcc
	v_mov_b32_e32 v5, v2
	global_store_dwordx4 v[0:1], v[113:116], off
	v_lshlrev_b64 v[0:1], 4, v[4:5]
	v_add_co_u32_e32 v0, vcc, v39, v0
	v_addc_co_u32_e32 v1, vcc, v40, v1, vcc
	global_store_dwordx4 v[0:1], v[8:11], off
.LBB0_21:
	s_endpgm
	.section	.rodata,"a",@progbits
	.p2align	6, 0x0
	.amdhsa_kernel fft_rtc_fwd_len1617_factors_3_7_7_11_wgs_231_tpt_231_dp_op_CI_CI_sbrr_dirReg
		.amdhsa_group_segment_fixed_size 0
		.amdhsa_private_segment_fixed_size 0
		.amdhsa_kernarg_size 104
		.amdhsa_user_sgpr_count 6
		.amdhsa_user_sgpr_private_segment_buffer 1
		.amdhsa_user_sgpr_dispatch_ptr 0
		.amdhsa_user_sgpr_queue_ptr 0
		.amdhsa_user_sgpr_kernarg_segment_ptr 1
		.amdhsa_user_sgpr_dispatch_id 0
		.amdhsa_user_sgpr_flat_scratch_init 0
		.amdhsa_user_sgpr_private_segment_size 0
		.amdhsa_uses_dynamic_stack 0
		.amdhsa_system_sgpr_private_segment_wavefront_offset 0
		.amdhsa_system_sgpr_workgroup_id_x 1
		.amdhsa_system_sgpr_workgroup_id_y 0
		.amdhsa_system_sgpr_workgroup_id_z 0
		.amdhsa_system_sgpr_workgroup_info 0
		.amdhsa_system_vgpr_workitem_id 0
		.amdhsa_next_free_vgpr 141
		.amdhsa_next_free_sgpr 38
		.amdhsa_reserve_vcc 1
		.amdhsa_reserve_flat_scratch 0
		.amdhsa_float_round_mode_32 0
		.amdhsa_float_round_mode_16_64 0
		.amdhsa_float_denorm_mode_32 3
		.amdhsa_float_denorm_mode_16_64 3
		.amdhsa_dx10_clamp 1
		.amdhsa_ieee_mode 1
		.amdhsa_fp16_overflow 0
		.amdhsa_exception_fp_ieee_invalid_op 0
		.amdhsa_exception_fp_denorm_src 0
		.amdhsa_exception_fp_ieee_div_zero 0
		.amdhsa_exception_fp_ieee_overflow 0
		.amdhsa_exception_fp_ieee_underflow 0
		.amdhsa_exception_fp_ieee_inexact 0
		.amdhsa_exception_int_div_zero 0
	.end_amdhsa_kernel
	.text
.Lfunc_end0:
	.size	fft_rtc_fwd_len1617_factors_3_7_7_11_wgs_231_tpt_231_dp_op_CI_CI_sbrr_dirReg, .Lfunc_end0-fft_rtc_fwd_len1617_factors_3_7_7_11_wgs_231_tpt_231_dp_op_CI_CI_sbrr_dirReg
                                        ; -- End function
	.section	.AMDGPU.csdata,"",@progbits
; Kernel info:
; codeLenInByte = 8560
; NumSgprs: 42
; NumVgprs: 141
; ScratchSize: 0
; MemoryBound: 1
; FloatMode: 240
; IeeeMode: 1
; LDSByteSize: 0 bytes/workgroup (compile time only)
; SGPRBlocks: 5
; VGPRBlocks: 35
; NumSGPRsForWavesPerEU: 42
; NumVGPRsForWavesPerEU: 141
; Occupancy: 1
; WaveLimiterHint : 1
; COMPUTE_PGM_RSRC2:SCRATCH_EN: 0
; COMPUTE_PGM_RSRC2:USER_SGPR: 6
; COMPUTE_PGM_RSRC2:TRAP_HANDLER: 0
; COMPUTE_PGM_RSRC2:TGID_X_EN: 1
; COMPUTE_PGM_RSRC2:TGID_Y_EN: 0
; COMPUTE_PGM_RSRC2:TGID_Z_EN: 0
; COMPUTE_PGM_RSRC2:TIDIG_COMP_CNT: 0
	.type	__hip_cuid_2f0e922501cdd8f2,@object ; @__hip_cuid_2f0e922501cdd8f2
	.section	.bss,"aw",@nobits
	.globl	__hip_cuid_2f0e922501cdd8f2
__hip_cuid_2f0e922501cdd8f2:
	.byte	0                               ; 0x0
	.size	__hip_cuid_2f0e922501cdd8f2, 1

	.ident	"AMD clang version 19.0.0git (https://github.com/RadeonOpenCompute/llvm-project roc-6.4.0 25133 c7fe45cf4b819c5991fe208aaa96edf142730f1d)"
	.section	".note.GNU-stack","",@progbits
	.addrsig
	.addrsig_sym __hip_cuid_2f0e922501cdd8f2
	.amdgpu_metadata
---
amdhsa.kernels:
  - .args:
      - .actual_access:  read_only
        .address_space:  global
        .offset:         0
        .size:           8
        .value_kind:     global_buffer
      - .offset:         8
        .size:           8
        .value_kind:     by_value
      - .actual_access:  read_only
        .address_space:  global
        .offset:         16
        .size:           8
        .value_kind:     global_buffer
      - .actual_access:  read_only
        .address_space:  global
        .offset:         24
        .size:           8
        .value_kind:     global_buffer
      - .actual_access:  read_only
        .address_space:  global
        .offset:         32
        .size:           8
        .value_kind:     global_buffer
      - .offset:         40
        .size:           8
        .value_kind:     by_value
      - .actual_access:  read_only
        .address_space:  global
        .offset:         48
        .size:           8
        .value_kind:     global_buffer
      - .actual_access:  read_only
        .address_space:  global
        .offset:         56
        .size:           8
        .value_kind:     global_buffer
      - .offset:         64
        .size:           4
        .value_kind:     by_value
      - .actual_access:  read_only
        .address_space:  global
        .offset:         72
        .size:           8
        .value_kind:     global_buffer
      - .actual_access:  read_only
        .address_space:  global
        .offset:         80
        .size:           8
        .value_kind:     global_buffer
      - .actual_access:  read_only
        .address_space:  global
        .offset:         88
        .size:           8
        .value_kind:     global_buffer
      - .actual_access:  write_only
        .address_space:  global
        .offset:         96
        .size:           8
        .value_kind:     global_buffer
    .group_segment_fixed_size: 0
    .kernarg_segment_align: 8
    .kernarg_segment_size: 104
    .language:       OpenCL C
    .language_version:
      - 2
      - 0
    .max_flat_workgroup_size: 231
    .name:           fft_rtc_fwd_len1617_factors_3_7_7_11_wgs_231_tpt_231_dp_op_CI_CI_sbrr_dirReg
    .private_segment_fixed_size: 0
    .sgpr_count:     42
    .sgpr_spill_count: 0
    .symbol:         fft_rtc_fwd_len1617_factors_3_7_7_11_wgs_231_tpt_231_dp_op_CI_CI_sbrr_dirReg.kd
    .uniform_work_group_size: 1
    .uses_dynamic_stack: false
    .vgpr_count:     141
    .vgpr_spill_count: 0
    .wavefront_size: 64
amdhsa.target:   amdgcn-amd-amdhsa--gfx906
amdhsa.version:
  - 1
  - 2
...

	.end_amdgpu_metadata
